;; amdgpu-corpus repo=ROCm/rocFFT kind=compiled arch=gfx906 opt=O3
	.text
	.amdgcn_target "amdgcn-amd-amdhsa--gfx906"
	.amdhsa_code_object_version 6
	.protected	fft_rtc_fwd_len156_factors_3_4_13_wgs_117_tpt_13_dp_op_CI_CI_sbrr_dirReg ; -- Begin function fft_rtc_fwd_len156_factors_3_4_13_wgs_117_tpt_13_dp_op_CI_CI_sbrr_dirReg
	.globl	fft_rtc_fwd_len156_factors_3_4_13_wgs_117_tpt_13_dp_op_CI_CI_sbrr_dirReg
	.p2align	8
	.type	fft_rtc_fwd_len156_factors_3_4_13_wgs_117_tpt_13_dp_op_CI_CI_sbrr_dirReg,@function
fft_rtc_fwd_len156_factors_3_4_13_wgs_117_tpt_13_dp_op_CI_CI_sbrr_dirReg: ; @fft_rtc_fwd_len156_factors_3_4_13_wgs_117_tpt_13_dp_op_CI_CI_sbrr_dirReg
; %bb.0:
	s_load_dwordx4 s[16:19], s[4:5], 0x18
	s_load_dwordx4 s[12:15], s[4:5], 0x0
	;; [unrolled: 1-line block ×3, first 2 shown]
	v_mul_u32_u24_e32 v1, 0x13b2, v0
	v_lshrrev_b32_e32 v1, 16, v1
	s_waitcnt lgkmcnt(0)
	s_load_dwordx2 s[2:3], s[16:17], 0x0
	s_load_dwordx2 s[20:21], s[18:19], 0x0
	v_mad_u64_u32 v[48:49], s[0:1], s6, 9, v[1:2]
	v_mov_b32_e32 v1, 0
	v_mov_b32_e32 v4, 0
	;; [unrolled: 1-line block ×3, first 2 shown]
	v_cmp_lt_u64_e64 s[0:1], s[14:15], 2
	v_mov_b32_e32 v5, 0
	v_mov_b32_e32 v65, v5
	;; [unrolled: 1-line block ×3, first 2 shown]
	s_and_b64 vcc, exec, s[0:1]
	v_mov_b32_e32 v64, v4
	v_mov_b32_e32 v66, v48
	s_cbranch_vccnz .LBB0_8
; %bb.1:
	s_load_dwordx2 s[0:1], s[4:5], 0x10
	s_add_u32 s6, s18, 8
	s_addc_u32 s7, s19, 0
	s_add_u32 s22, s16, 8
	v_mov_b32_e32 v4, 0
	s_addc_u32 s23, s17, 0
	v_mov_b32_e32 v5, 0
	s_waitcnt lgkmcnt(0)
	s_add_u32 s24, s0, 8
	v_mov_b32_e32 v65, v5
	v_mov_b32_e32 v6, v48
	s_addc_u32 s25, s1, 0
	s_mov_b64 s[26:27], 1
	v_mov_b32_e32 v64, v4
	v_mov_b32_e32 v7, v49
.LBB0_2:                                ; =>This Inner Loop Header: Depth=1
	s_load_dwordx2 s[28:29], s[24:25], 0x0
                                        ; implicit-def: $vgpr66_vgpr67
	s_waitcnt lgkmcnt(0)
	v_or_b32_e32 v2, s29, v7
	v_cmp_ne_u64_e32 vcc, 0, v[1:2]
	s_and_saveexec_b64 s[0:1], vcc
	s_xor_b64 s[30:31], exec, s[0:1]
	s_cbranch_execz .LBB0_4
; %bb.3:                                ;   in Loop: Header=BB0_2 Depth=1
	v_cvt_f32_u32_e32 v2, s28
	v_cvt_f32_u32_e32 v3, s29
	s_sub_u32 s0, 0, s28
	s_subb_u32 s1, 0, s29
	v_mac_f32_e32 v2, 0x4f800000, v3
	v_rcp_f32_e32 v2, v2
	v_mul_f32_e32 v2, 0x5f7ffffc, v2
	v_mul_f32_e32 v3, 0x2f800000, v2
	v_trunc_f32_e32 v3, v3
	v_mac_f32_e32 v2, 0xcf800000, v3
	v_cvt_u32_f32_e32 v3, v3
	v_cvt_u32_f32_e32 v2, v2
	v_mul_lo_u32 v8, s0, v3
	v_mul_hi_u32 v9, s0, v2
	v_mul_lo_u32 v11, s1, v2
	v_mul_lo_u32 v10, s0, v2
	v_add_u32_e32 v8, v9, v8
	v_add_u32_e32 v8, v8, v11
	v_mul_hi_u32 v9, v2, v10
	v_mul_lo_u32 v11, v2, v8
	v_mul_hi_u32 v13, v2, v8
	v_mul_hi_u32 v12, v3, v10
	v_mul_lo_u32 v10, v3, v10
	v_mul_hi_u32 v14, v3, v8
	v_add_co_u32_e32 v9, vcc, v9, v11
	v_addc_co_u32_e32 v11, vcc, 0, v13, vcc
	v_mul_lo_u32 v8, v3, v8
	v_add_co_u32_e32 v9, vcc, v9, v10
	v_addc_co_u32_e32 v9, vcc, v11, v12, vcc
	v_addc_co_u32_e32 v10, vcc, 0, v14, vcc
	v_add_co_u32_e32 v8, vcc, v9, v8
	v_addc_co_u32_e32 v9, vcc, 0, v10, vcc
	v_add_co_u32_e32 v2, vcc, v2, v8
	v_addc_co_u32_e32 v3, vcc, v3, v9, vcc
	v_mul_lo_u32 v8, s0, v3
	v_mul_hi_u32 v9, s0, v2
	v_mul_lo_u32 v10, s1, v2
	v_mul_lo_u32 v11, s0, v2
	v_add_u32_e32 v8, v9, v8
	v_add_u32_e32 v8, v8, v10
	v_mul_lo_u32 v12, v2, v8
	v_mul_hi_u32 v13, v2, v11
	v_mul_hi_u32 v14, v2, v8
	;; [unrolled: 1-line block ×3, first 2 shown]
	v_mul_lo_u32 v11, v3, v11
	v_mul_hi_u32 v9, v3, v8
	v_add_co_u32_e32 v12, vcc, v13, v12
	v_addc_co_u32_e32 v13, vcc, 0, v14, vcc
	v_mul_lo_u32 v8, v3, v8
	v_add_co_u32_e32 v11, vcc, v12, v11
	v_addc_co_u32_e32 v10, vcc, v13, v10, vcc
	v_addc_co_u32_e32 v9, vcc, 0, v9, vcc
	v_add_co_u32_e32 v8, vcc, v10, v8
	v_addc_co_u32_e32 v9, vcc, 0, v9, vcc
	v_add_co_u32_e32 v8, vcc, v2, v8
	v_addc_co_u32_e32 v9, vcc, v3, v9, vcc
	v_mad_u64_u32 v[2:3], s[0:1], v6, v9, 0
	v_mul_hi_u32 v10, v6, v8
	v_add_co_u32_e32 v10, vcc, v10, v2
	v_addc_co_u32_e32 v11, vcc, 0, v3, vcc
	v_mad_u64_u32 v[2:3], s[0:1], v7, v8, 0
	v_mad_u64_u32 v[8:9], s[0:1], v7, v9, 0
	v_add_co_u32_e32 v2, vcc, v10, v2
	v_addc_co_u32_e32 v2, vcc, v11, v3, vcc
	v_addc_co_u32_e32 v3, vcc, 0, v9, vcc
	v_add_co_u32_e32 v8, vcc, v2, v8
	v_addc_co_u32_e32 v9, vcc, 0, v3, vcc
	v_mul_lo_u32 v10, s29, v8
	v_mul_lo_u32 v11, s28, v9
	v_mad_u64_u32 v[2:3], s[0:1], s28, v8, 0
	v_add3_u32 v3, v3, v11, v10
	v_sub_u32_e32 v10, v7, v3
	v_mov_b32_e32 v11, s29
	v_sub_co_u32_e32 v2, vcc, v6, v2
	v_subb_co_u32_e64 v10, s[0:1], v10, v11, vcc
	v_subrev_co_u32_e64 v11, s[0:1], s28, v2
	v_subbrev_co_u32_e64 v10, s[0:1], 0, v10, s[0:1]
	v_cmp_le_u32_e64 s[0:1], s29, v10
	v_cndmask_b32_e64 v12, 0, -1, s[0:1]
	v_cmp_le_u32_e64 s[0:1], s28, v11
	v_cndmask_b32_e64 v11, 0, -1, s[0:1]
	v_cmp_eq_u32_e64 s[0:1], s29, v10
	v_cndmask_b32_e64 v10, v12, v11, s[0:1]
	v_add_co_u32_e64 v11, s[0:1], 2, v8
	v_addc_co_u32_e64 v12, s[0:1], 0, v9, s[0:1]
	v_add_co_u32_e64 v13, s[0:1], 1, v8
	v_addc_co_u32_e64 v14, s[0:1], 0, v9, s[0:1]
	v_subb_co_u32_e32 v3, vcc, v7, v3, vcc
	v_cmp_ne_u32_e64 s[0:1], 0, v10
	v_cmp_le_u32_e32 vcc, s29, v3
	v_cndmask_b32_e64 v10, v14, v12, s[0:1]
	v_cndmask_b32_e64 v12, 0, -1, vcc
	v_cmp_le_u32_e32 vcc, s28, v2
	v_cndmask_b32_e64 v2, 0, -1, vcc
	v_cmp_eq_u32_e32 vcc, s29, v3
	v_cndmask_b32_e32 v2, v12, v2, vcc
	v_cmp_ne_u32_e32 vcc, 0, v2
	v_cndmask_b32_e64 v2, v13, v11, s[0:1]
	v_cndmask_b32_e32 v67, v9, v10, vcc
	v_cndmask_b32_e32 v66, v8, v2, vcc
.LBB0_4:                                ;   in Loop: Header=BB0_2 Depth=1
	s_andn2_saveexec_b64 s[0:1], s[30:31]
	s_cbranch_execz .LBB0_6
; %bb.5:                                ;   in Loop: Header=BB0_2 Depth=1
	v_cvt_f32_u32_e32 v2, s28
	s_sub_i32 s30, 0, s28
	v_mov_b32_e32 v67, v1
	v_rcp_iflag_f32_e32 v2, v2
	v_mul_f32_e32 v2, 0x4f7ffffe, v2
	v_cvt_u32_f32_e32 v2, v2
	v_mul_lo_u32 v3, s30, v2
	v_mul_hi_u32 v3, v2, v3
	v_add_u32_e32 v2, v2, v3
	v_mul_hi_u32 v2, v6, v2
	v_mul_lo_u32 v3, v2, s28
	v_add_u32_e32 v8, 1, v2
	v_sub_u32_e32 v3, v6, v3
	v_subrev_u32_e32 v9, s28, v3
	v_cmp_le_u32_e32 vcc, s28, v3
	v_cndmask_b32_e32 v3, v3, v9, vcc
	v_cndmask_b32_e32 v2, v2, v8, vcc
	v_add_u32_e32 v8, 1, v2
	v_cmp_le_u32_e32 vcc, s28, v3
	v_cndmask_b32_e32 v66, v2, v8, vcc
.LBB0_6:                                ;   in Loop: Header=BB0_2 Depth=1
	s_or_b64 exec, exec, s[0:1]
	v_mul_lo_u32 v8, v67, s28
	v_mul_lo_u32 v9, v66, s29
	v_mad_u64_u32 v[2:3], s[0:1], v66, s28, 0
	s_load_dwordx2 s[0:1], s[22:23], 0x0
	s_load_dwordx2 s[28:29], s[6:7], 0x0
	v_add3_u32 v3, v3, v9, v8
	v_sub_co_u32_e32 v2, vcc, v6, v2
	v_subb_co_u32_e32 v3, vcc, v7, v3, vcc
	s_waitcnt lgkmcnt(0)
	v_mul_lo_u32 v6, s0, v3
	v_mul_lo_u32 v7, s1, v2
	v_mad_u64_u32 v[4:5], s[0:1], s0, v2, v[4:5]
	v_mul_lo_u32 v3, s28, v3
	v_mul_lo_u32 v8, s29, v2
	v_mad_u64_u32 v[64:65], s[0:1], s28, v2, v[64:65]
	s_add_u32 s26, s26, 1
	s_addc_u32 s27, s27, 0
	s_add_u32 s6, s6, 8
	v_add3_u32 v65, v8, v65, v3
	s_addc_u32 s7, s7, 0
	v_mov_b32_e32 v2, s14
	s_add_u32 s22, s22, 8
	v_mov_b32_e32 v3, s15
	s_addc_u32 s23, s23, 0
	v_cmp_ge_u64_e32 vcc, s[26:27], v[2:3]
	s_add_u32 s24, s24, 8
	v_add3_u32 v5, v7, v5, v6
	s_addc_u32 s25, s25, 0
	s_cbranch_vccnz .LBB0_8
; %bb.7:                                ;   in Loop: Header=BB0_2 Depth=1
	v_mov_b32_e32 v6, v66
	v_mov_b32_e32 v7, v67
	s_branch .LBB0_2
.LBB0_8:
	s_load_dwordx2 s[0:1], s[4:5], 0x28
	s_lshl_b64 s[14:15], s[14:15], 3
	s_add_u32 s4, s18, s14
	s_addc_u32 s5, s19, s15
                                        ; implicit-def: $vgpr132
                                        ; implicit-def: $vgpr49
                                        ; implicit-def: $vgpr50
                                        ; implicit-def: $vgpr51
	s_waitcnt lgkmcnt(0)
	v_cmp_gt_u64_e32 vcc, s[0:1], v[66:67]
	v_cmp_le_u64_e64 s[0:1], s[0:1], v[66:67]
	s_and_saveexec_b64 s[6:7], s[0:1]
	s_xor_b64 s[0:1], exec, s[6:7]
; %bb.9:
	s_mov_b32 s6, 0x13b13b14
	v_mul_hi_u32 v1, v0, s6
                                        ; implicit-def: $vgpr4_vgpr5
	v_mul_u32_u24_e32 v1, 13, v1
	v_sub_u32_e32 v132, v0, v1
	v_add_u32_e32 v49, 13, v132
	v_add_u32_e32 v50, 26, v132
	;; [unrolled: 1-line block ×3, first 2 shown]
                                        ; implicit-def: $vgpr0
; %bb.10:
	s_or_saveexec_b64 s[6:7], s[0:1]
                                        ; implicit-def: $vgpr46_vgpr47
                                        ; implicit-def: $vgpr38_vgpr39
                                        ; implicit-def: $vgpr26_vgpr27
                                        ; implicit-def: $vgpr14_vgpr15
                                        ; implicit-def: $vgpr10_vgpr11
                                        ; implicit-def: $vgpr6_vgpr7
                                        ; implicit-def: $vgpr2_vgpr3
                                        ; implicit-def: $vgpr18_vgpr19
                                        ; implicit-def: $vgpr22_vgpr23
                                        ; implicit-def: $vgpr30_vgpr31
                                        ; implicit-def: $vgpr34_vgpr35
                                        ; implicit-def: $vgpr42_vgpr43
	s_xor_b64 exec, exec, s[6:7]
	s_cbranch_execz .LBB0_12
; %bb.11:
	s_add_u32 s0, s16, s14
	s_mov_b32 s14, 0x13b13b14
	s_addc_u32 s1, s17, s15
	v_mul_hi_u32 v1, v0, s14
	s_load_dwordx2 s[0:1], s[0:1], 0x0
	v_mul_u32_u24_e32 v1, 13, v1
	v_sub_u32_e32 v132, v0, v1
	s_waitcnt lgkmcnt(0)
	v_mul_lo_u32 v8, s1, v66
	v_mad_u64_u32 v[0:1], s[14:15], s2, v132, 0
	v_mul_lo_u32 v9, s0, v67
	v_mad_u64_u32 v[2:3], s[0:1], s0, v66, 0
	v_add_u32_e32 v49, 13, v132
	v_add_u32_e32 v50, 26, v132
	v_mad_u64_u32 v[6:7], s[0:1], s3, v132, v[1:2]
	v_add3_u32 v3, v3, v9, v8
	v_lshlrev_b64 v[2:3], 4, v[2:3]
	v_mov_b32_e32 v1, v6
	v_mov_b32_e32 v6, s9
	v_add_co_u32_e64 v7, s[0:1], s8, v2
	v_add_u32_e32 v8, 52, v132
	v_addc_co_u32_e64 v6, s[0:1], v6, v3, s[0:1]
	v_lshlrev_b64 v[2:3], 4, v[4:5]
	v_mad_u64_u32 v[4:5], s[0:1], s2, v8, 0
	v_add_co_u32_e64 v9, s[0:1], v7, v2
	v_mov_b32_e32 v2, v5
	v_addc_co_u32_e64 v10, s[0:1], v6, v3, s[0:1]
	v_mad_u64_u32 v[2:3], s[0:1], s3, v8, v[2:3]
	v_add_u32_e32 v3, 0x68, v132
	v_mad_u64_u32 v[6:7], s[0:1], s2, v3, 0
	v_lshlrev_b64 v[0:1], 4, v[0:1]
	v_mov_b32_e32 v5, v2
	v_add_co_u32_e64 v52, s[0:1], v9, v0
	v_mov_b32_e32 v2, v7
	v_addc_co_u32_e64 v53, s[0:1], v10, v1, s[0:1]
	v_mad_u64_u32 v[2:3], s[0:1], s3, v3, v[2:3]
	v_lshlrev_b64 v[0:1], 4, v[4:5]
	v_mad_u64_u32 v[3:4], s[0:1], s2, v49, 0
	v_add_co_u32_e64 v54, s[0:1], v9, v0
	v_mov_b32_e32 v7, v2
	v_mov_b32_e32 v2, v4
	v_addc_co_u32_e64 v55, s[0:1], v10, v1, s[0:1]
	v_lshlrev_b64 v[0:1], 4, v[6:7]
	v_mad_u64_u32 v[4:5], s[0:1], s3, v49, v[2:3]
	v_add_u32_e32 v7, 0x41, v132
	v_mad_u64_u32 v[5:6], s[0:1], s2, v7, 0
	v_add_co_u32_e64 v56, s[0:1], v9, v0
	v_mov_b32_e32 v2, v6
	v_addc_co_u32_e64 v57, s[0:1], v10, v1, s[0:1]
	v_lshlrev_b64 v[0:1], 4, v[3:4]
	v_mad_u64_u32 v[2:3], s[0:1], s3, v7, v[2:3]
	v_add_u32_e32 v7, 0x75, v132
	v_mad_u64_u32 v[3:4], s[0:1], s2, v7, 0
	v_add_co_u32_e64 v58, s[0:1], v9, v0
	v_mov_b32_e32 v6, v2
	v_mov_b32_e32 v2, v4
	v_addc_co_u32_e64 v59, s[0:1], v10, v1, s[0:1]
	v_lshlrev_b64 v[0:1], 4, v[5:6]
	v_mad_u64_u32 v[4:5], s[0:1], s3, v7, v[2:3]
	v_mad_u64_u32 v[5:6], s[0:1], s2, v50, 0
	v_add_co_u32_e64 v60, s[0:1], v9, v0
	v_mov_b32_e32 v2, v6
	v_addc_co_u32_e64 v61, s[0:1], v10, v1, s[0:1]
	v_lshlrev_b64 v[0:1], 4, v[3:4]
	v_mad_u64_u32 v[2:3], s[0:1], s3, v50, v[2:3]
	v_add_u32_e32 v7, 0x4e, v132
	v_mad_u64_u32 v[3:4], s[0:1], s2, v7, 0
	v_add_co_u32_e64 v62, s[0:1], v9, v0
	v_mov_b32_e32 v6, v2
	v_mov_b32_e32 v2, v4
	v_addc_co_u32_e64 v63, s[0:1], v10, v1, s[0:1]
	v_lshlrev_b64 v[0:1], 4, v[5:6]
	v_mad_u64_u32 v[4:5], s[0:1], s3, v7, v[2:3]
	v_add_u32_e32 v7, 0x82, v132
	v_mad_u64_u32 v[5:6], s[0:1], s2, v7, 0
	v_add_co_u32_e64 v68, s[0:1], v9, v0
	v_mov_b32_e32 v2, v6
	v_addc_co_u32_e64 v69, s[0:1], v10, v1, s[0:1]
	v_lshlrev_b64 v[0:1], 4, v[3:4]
	v_mad_u64_u32 v[2:3], s[0:1], s3, v7, v[2:3]
	v_add_u32_e32 v51, 39, v132
	v_mad_u64_u32 v[3:4], s[0:1], s2, v51, 0
	v_add_co_u32_e64 v70, s[0:1], v9, v0
	v_mov_b32_e32 v6, v2
	v_mov_b32_e32 v2, v4
	v_addc_co_u32_e64 v71, s[0:1], v10, v1, s[0:1]
	v_lshlrev_b64 v[0:1], 4, v[5:6]
	v_mad_u64_u32 v[4:5], s[0:1], s3, v51, v[2:3]
	v_add_u32_e32 v7, 0x5b, v132
	v_mad_u64_u32 v[5:6], s[0:1], s2, v7, 0
	v_add_co_u32_e64 v72, s[0:1], v9, v0
	v_mov_b32_e32 v2, v6
	v_addc_co_u32_e64 v73, s[0:1], v10, v1, s[0:1]
	v_lshlrev_b64 v[0:1], 4, v[3:4]
	v_mad_u64_u32 v[2:3], s[0:1], s3, v7, v[2:3]
	v_add_u32_e32 v7, 0x8f, v132
	v_mad_u64_u32 v[3:4], s[0:1], s2, v7, 0
	v_add_co_u32_e64 v74, s[0:1], v9, v0
	v_mov_b32_e32 v6, v2
	v_mov_b32_e32 v2, v4
	v_addc_co_u32_e64 v75, s[0:1], v10, v1, s[0:1]
	v_lshlrev_b64 v[0:1], 4, v[5:6]
	v_mad_u64_u32 v[4:5], s[0:1], s3, v7, v[2:3]
	v_add_co_u32_e64 v76, s[0:1], v9, v0
	v_addc_co_u32_e64 v77, s[0:1], v10, v1, s[0:1]
	v_lshlrev_b64 v[0:1], 4, v[3:4]
	v_add_co_u32_e64 v78, s[0:1], v9, v0
	v_addc_co_u32_e64 v79, s[0:1], v10, v1, s[0:1]
	global_load_dwordx4 v[40:43], v[52:53], off
	global_load_dwordx4 v[44:47], v[54:55], off
	;; [unrolled: 1-line block ×12, first 2 shown]
.LBB0_12:
	s_or_b64 exec, exec, s[6:7]
	s_waitcnt vmcnt(9)
	v_add_f64 v[52:53], v[44:45], v[36:37]
	v_add_f64 v[54:55], v[46:47], v[38:39]
	;; [unrolled: 1-line block ×4, first 2 shown]
	v_add_f64 v[46:47], v[46:47], -v[38:39]
	v_add_f64 v[60:61], v[44:45], -v[36:37]
	s_waitcnt vmcnt(6)
	v_add_f64 v[62:63], v[26:27], v[30:31]
	s_mov_b32 s0, 0xe8584caa
	v_fma_f64 v[44:45], v[52:53], -0.5, v[40:41]
	v_add_f64 v[52:53], v[24:25], v[28:29]
	v_fma_f64 v[54:55], v[54:55], -0.5, v[42:43]
	v_add_f64 v[38:39], v[38:39], v[58:59]
	v_add_f64 v[58:59], v[30:31], v[34:35]
	v_add_f64 v[36:37], v[36:37], v[56:57]
	v_add_f64 v[56:57], v[28:29], v[32:33]
	s_mov_b32 s1, 0x3febb67a
	s_mov_b32 s3, 0xbfebb67a
	;; [unrolled: 1-line block ×3, first 2 shown]
	v_fma_f64 v[40:41], v[46:47], s[0:1], v[44:45]
	v_fma_f64 v[44:45], v[46:47], s[2:3], v[44:45]
	v_fma_f64 v[42:43], v[60:61], s[2:3], v[54:55]
	v_fma_f64 v[32:33], v[52:53], -0.5, v[32:33]
	v_add_f64 v[30:31], v[30:31], -v[26:27]
	v_fma_f64 v[46:47], v[60:61], s[0:1], v[54:55]
	v_fma_f64 v[34:35], v[62:63], -0.5, v[34:35]
	v_add_f64 v[52:53], v[28:29], -v[24:25]
	s_waitcnt vmcnt(3)
	v_add_f64 v[54:55], v[16:17], v[20:21]
	v_add_f64 v[26:27], v[26:27], v[58:59]
	;; [unrolled: 1-line block ×5, first 2 shown]
	v_fma_f64 v[28:29], v[30:31], s[0:1], v[32:33]
	v_fma_f64 v[32:33], v[30:31], s[2:3], v[32:33]
	v_add_f64 v[60:61], v[14:15], v[22:23]
	v_fma_f64 v[30:31], v[52:53], s[2:3], v[34:35]
	v_fma_f64 v[54:55], v[54:55], -0.5, v[12:13]
	v_add_f64 v[22:23], v[22:23], -v[18:19]
	v_fma_f64 v[34:35], v[52:53], s[0:1], v[34:35]
	v_add_f64 v[12:13], v[16:17], v[58:59]
	s_waitcnt vmcnt(0)
	v_add_f64 v[52:53], v[4:5], v[0:1]
	v_add_f64 v[58:59], v[6:7], v[2:3]
	v_fma_f64 v[56:57], v[56:57], -0.5, v[14:15]
	v_add_f64 v[62:63], v[20:21], -v[16:17]
	v_add_f64 v[14:15], v[18:19], v[60:61]
	v_fma_f64 v[16:17], v[22:23], s[0:1], v[54:55]
	v_fma_f64 v[20:21], v[22:23], s[2:3], v[54:55]
	v_add_f64 v[54:55], v[8:9], v[4:5]
	v_fma_f64 v[8:9], v[52:53], -0.5, v[8:9]
	v_fma_f64 v[52:53], v[58:59], -0.5, v[10:11]
	v_add_f64 v[10:11], v[10:11], v[6:7]
	v_fma_f64 v[18:19], v[62:63], s[2:3], v[56:57]
	v_fma_f64 v[22:23], v[62:63], s[0:1], v[56:57]
	s_mov_b32 s6, 0x38e38e39
	v_add_f64 v[6:7], v[6:7], -v[2:3]
	v_add_f64 v[56:57], v[4:5], -v[0:1]
	v_mul_hi_u32 v58, v48, s6
	v_add_f64 v[0:1], v[54:55], v[0:1]
	v_add_f64 v[2:3], v[10:11], v[2:3]
	s_load_dwordx2 s[4:5], s[4:5], 0x0
	v_lshrrev_b32_e32 v4, 1, v58
	v_lshl_add_u32 v4, v4, 3, v4
	v_sub_u32_e32 v4, v48, v4
	v_mul_u32_u24_e32 v48, 0x9c, v4
	v_fma_f64 v[4:5], v[6:7], s[0:1], v[8:9]
	v_fma_f64 v[8:9], v[6:7], s[2:3], v[8:9]
	v_fma_f64 v[6:7], v[56:57], s[2:3], v[52:53]
	v_fma_f64 v[10:11], v[56:57], s[0:1], v[52:53]
	v_lshlrev_b32_e32 v52, 4, v48
	v_add_u32_e32 v48, 0, v52
	v_mad_u32_u24 v53, v132, 48, v48
	ds_write_b128 v53, v[36:39]
	ds_write_b128 v53, v[40:43] offset:16
	ds_write_b128 v53, v[44:47] offset:32
	v_mad_i32_i24 v36, v49, 48, v48
	ds_write_b128 v36, v[24:27]
	ds_write_b128 v36, v[28:31] offset:16
	ds_write_b128 v36, v[32:35] offset:32
	v_mad_i32_i24 v24, v50, 48, v48
	v_mad_i32_i24 v36, v51, 48, v48
	s_movk_i32 s0, 0xab
	ds_write_b128 v24, v[12:15]
	ds_write_b128 v24, v[16:19] offset:16
	ds_write_b128 v24, v[20:23] offset:32
	ds_write_b128 v36, v[0:3]
	ds_write_b128 v36, v[4:7] offset:16
	ds_write_b128 v36, v[8:11] offset:32
	v_mul_lo_u16_sdwa v0, v132, s0 dst_sel:DWORD dst_unused:UNUSED_PAD src0_sel:BYTE_0 src1_sel:DWORD
	v_lshrrev_b16_e32 v86, 9, v0
	v_mul_lo_u16_e32 v0, 3, v86
	v_sub_u16_e32 v87, v132, v0
	v_mul_lo_u16_e32 v0, 3, v87
	v_mov_b32_e32 v12, 4
	v_lshlrev_b32_sdwa v8, v12, v0 dst_sel:DWORD dst_unused:UNUSED_PAD src0_sel:DWORD src1_sel:BYTE_0
	s_waitcnt lgkmcnt(0)
	s_barrier
	global_load_dwordx4 v[0:3], v8, s[12:13]
	global_load_dwordx4 v[4:7], v8, s[12:13] offset:16
	v_mul_lo_u16_sdwa v13, v49, s0 dst_sel:DWORD dst_unused:UNUSED_PAD src0_sel:BYTE_0 src1_sel:DWORD
	global_load_dwordx4 v[8:11], v8, s[12:13] offset:32
	v_lshrrev_b16_e32 v88, 9, v13
	v_mul_lo_u16_e32 v13, 3, v88
	v_sub_u16_e32 v89, v49, v13
	v_mul_lo_u16_e32 v13, 3, v89
	v_lshlrev_b32_sdwa v24, v12, v13 dst_sel:DWORD dst_unused:UNUSED_PAD src0_sel:DWORD src1_sel:BYTE_0
	global_load_dwordx4 v[12:15], v24, s[12:13]
	global_load_dwordx4 v[16:19], v24, s[12:13] offset:16
	global_load_dwordx4 v[20:23], v24, s[12:13] offset:32
	v_mul_lo_u16_sdwa v24, v50, s0 dst_sel:DWORD dst_unused:UNUSED_PAD src0_sel:BYTE_0 src1_sel:DWORD
	v_lshrrev_b16_e32 v90, 9, v24
	v_mul_lo_u16_e32 v24, 3, v90
	v_sub_u16_e32 v91, v50, v24
	v_mov_b32_e32 v24, 3
	v_mul_u32_u24_sdwa v24, v91, v24 dst_sel:DWORD dst_unused:UNUSED_PAD src0_sel:BYTE_0 src1_sel:DWORD
	v_lshlrev_b32_e32 v37, 4, v24
	global_load_dwordx4 v[24:27], v37, s[12:13]
	global_load_dwordx4 v[28:31], v37, s[12:13] offset:16
	global_load_dwordx4 v[32:35], v37, s[12:13] offset:32
	v_lshlrev_b32_e32 v37, 5, v51
	v_sub_u32_e32 v36, v36, v37
	ds_read_b128 v[36:39], v36
	v_lshlrev_b32_e32 v51, 4, v132
	v_add3_u32 v52, 0, v51, v52
	ds_read_b128 v[40:43], v52 offset:2288
	ds_read_b128 v[44:47], v52 offset:1248
	;; [unrolled: 1-line block ×3, first 2 shown]
	v_add_u32_e32 v53, v48, v51
	v_cmp_gt_u32_e64 s[0:1], 12, v132
	ds_read_b128 v[68:71], v52 offset:1664
	s_waitcnt vmcnt(8) lgkmcnt(4)
	v_mul_f64 v[58:59], v[38:39], v[2:3]
	v_mul_f64 v[2:3], v[36:37], v[2:3]
	s_waitcnt vmcnt(7) lgkmcnt(2)
	v_mul_f64 v[62:63], v[46:47], v[6:7]
	v_mul_f64 v[6:7], v[44:45], v[6:7]
	v_fma_f64 v[72:73], v[36:37], v[0:1], -v[58:59]
	ds_read_b128 v[58:61], v52 offset:1872
	v_fma_f64 v[74:75], v[38:39], v[0:1], v[2:3]
	ds_read_b128 v[0:3], v52 offset:2080
	v_fma_f64 v[62:63], v[44:45], v[4:5], -v[62:63]
	v_fma_f64 v[76:77], v[46:47], v[4:5], v[6:7]
	s_waitcnt vmcnt(6) lgkmcnt(1)
	v_mul_f64 v[78:79], v[60:61], v[10:11]
	v_mul_f64 v[10:11], v[58:59], v[10:11]
	ds_read_b128 v[4:7], v52 offset:832
	s_waitcnt vmcnt(3) lgkmcnt(1)
	v_mul_f64 v[84:85], v[2:3], v[22:23]
	v_mul_f64 v[22:23], v[0:1], v[22:23]
	ds_read_b128 v[44:47], v53
	ds_read_b128 v[36:39], v52 offset:1456
	s_waitcnt lgkmcnt(2)
	v_mul_f64 v[80:81], v[6:7], v[14:15]
	v_fma_f64 v[58:59], v[58:59], v[8:9], -v[78:79]
	v_fma_f64 v[8:9], v[60:61], v[8:9], v[10:11]
	v_mul_f64 v[14:15], v[4:5], v[14:15]
	s_waitcnt lgkmcnt(0)
	v_mul_f64 v[82:83], v[38:39], v[18:19]
	v_mul_f64 v[18:19], v[36:37], v[18:19]
	v_fma_f64 v[60:61], v[4:5], v[12:13], -v[80:81]
	v_fma_f64 v[80:81], v[0:1], v[20:21], -v[84:85]
	v_fma_f64 v[20:21], v[2:3], v[20:21], v[22:23]
	v_add_f64 v[22:23], v[44:45], -v[62:63]
	v_add_f64 v[62:63], v[46:47], -v[76:77]
	;; [unrolled: 1-line block ×4, first 2 shown]
	s_waitcnt vmcnt(2)
	v_mul_f64 v[0:1], v[56:57], v[26:27]
	v_mul_f64 v[2:3], v[54:55], v[26:27]
	v_fma_f64 v[78:79], v[6:7], v[12:13], v[14:15]
	s_waitcnt vmcnt(1)
	v_mul_f64 v[4:5], v[70:71], v[30:31]
	v_mul_f64 v[6:7], v[68:69], v[30:31]
	v_fma_f64 v[26:27], v[44:45], 2.0, -v[22:23]
	v_fma_f64 v[30:31], v[46:47], 2.0, -v[62:63]
	;; [unrolled: 1-line block ×4, first 2 shown]
	v_fma_f64 v[44:45], v[54:55], v[24:25], -v[0:1]
	v_fma_f64 v[24:25], v[56:57], v[24:25], v[2:3]
	s_waitcnt vmcnt(0)
	v_mul_f64 v[0:1], v[42:43], v[34:35]
	v_mul_f64 v[2:3], v[40:41], v[34:35]
	v_fma_f64 v[36:37], v[36:37], v[16:17], -v[82:83]
	v_fma_f64 v[38:39], v[38:39], v[16:17], v[18:19]
	v_fma_f64 v[34:35], v[68:69], v[28:29], -v[4:5]
	v_fma_f64 v[28:29], v[70:71], v[28:29], v[6:7]
	v_add_f64 v[4:5], v[26:27], -v[12:13]
	v_add_f64 v[6:7], v[30:31], -v[14:15]
	v_lshl_add_u32 v12, v49, 4, v48
	v_lshl_add_u32 v16, v50, 4, v48
	v_fma_f64 v[40:41], v[40:41], v[32:33], -v[0:1]
	v_fma_f64 v[32:33], v[42:43], v[32:33], v[2:3]
	ds_read_b128 v[12:15], v12
	ds_read_b128 v[16:19], v16
	v_add_f64 v[8:9], v[22:23], -v[8:9]
	v_fma_f64 v[0:1], v[26:27], 2.0, -v[4:5]
	v_fma_f64 v[2:3], v[30:31], 2.0, -v[6:7]
	s_waitcnt lgkmcnt(1)
	v_add_f64 v[30:31], v[12:13], -v[36:37]
	v_add_f64 v[42:43], v[14:15], -v[38:39]
	;; [unrolled: 1-line block ×4, first 2 shown]
	s_waitcnt lgkmcnt(0)
	v_add_f64 v[49:50], v[16:17], -v[34:35]
	v_add_f64 v[54:55], v[18:19], -v[28:29]
	;; [unrolled: 1-line block ×4, first 2 shown]
	v_fma_f64 v[34:35], v[12:13], 2.0, -v[30:31]
	v_fma_f64 v[40:41], v[14:15], 2.0, -v[42:43]
	v_fma_f64 v[12:13], v[60:61], 2.0, -v[26:27]
	v_fma_f64 v[14:15], v[78:79], 2.0, -v[36:37]
	v_fma_f64 v[56:57], v[16:17], 2.0, -v[49:50]
	v_fma_f64 v[58:59], v[18:19], 2.0, -v[54:55]
	v_fma_f64 v[38:39], v[44:45], 2.0, -v[28:29]
	v_fma_f64 v[24:25], v[24:25], 2.0, -v[32:33]
	v_add_f64 v[10:11], v[62:63], v[10:11]
	v_fma_f64 v[16:17], v[22:23], 2.0, -v[8:9]
	v_add_f64 v[20:21], v[34:35], -v[12:13]
	v_add_f64 v[22:23], v[40:41], -v[14:15]
	;; [unrolled: 1-line block ×4, first 2 shown]
	v_add_f64 v[14:15], v[42:43], v[26:27]
	v_add_f64 v[36:37], v[56:57], -v[38:39]
	v_add_f64 v[38:39], v[58:59], -v[24:25]
	v_add_f64 v[46:47], v[54:55], v[28:29]
	v_fma_f64 v[18:19], v[62:63], 2.0, -v[10:11]
	v_fma_f64 v[24:25], v[34:35], 2.0, -v[20:21]
	;; [unrolled: 1-line block ×4, first 2 shown]
	v_mul_lo_u16_e32 v49, 12, v86
	v_fma_f64 v[28:29], v[30:31], 2.0, -v[12:13]
	v_fma_f64 v[30:31], v[42:43], 2.0, -v[14:15]
	v_or_b32_e32 v49, v49, v87
	v_and_b32_e32 v49, 0xff, v49
	v_fma_f64 v[32:33], v[56:57], 2.0, -v[36:37]
	v_fma_f64 v[34:35], v[58:59], 2.0, -v[38:39]
	v_fma_f64 v[42:43], v[54:55], 2.0, -v[46:47]
	v_lshl_add_u32 v49, v49, 4, v48
	s_barrier
	ds_write_b128 v49, v[0:3]
	ds_write_b128 v49, v[16:19] offset:48
	ds_write_b128 v49, v[4:7] offset:96
	;; [unrolled: 1-line block ×3, first 2 shown]
	v_mul_lo_u16_e32 v49, 12, v88
	v_or_b32_e32 v49, v49, v89
	v_and_b32_e32 v49, 0xff, v49
	v_lshl_add_u32 v49, v49, 4, v48
	ds_write_b128 v49, v[24:27]
	ds_write_b128 v49, v[28:31] offset:48
	ds_write_b128 v49, v[20:23] offset:96
	;; [unrolled: 1-line block ×3, first 2 shown]
	v_mul_u32_u24_e32 v49, 12, v90
	v_or_b32_sdwa v49, v49, v91 dst_sel:DWORD dst_unused:UNUSED_PAD src0_sel:DWORD src1_sel:BYTE_0
	v_lshl_add_u32 v48, v49, 4, v48
	ds_write_b128 v48, v[32:35]
	ds_write_b128 v48, v[40:43] offset:48
	ds_write_b128 v48, v[36:39] offset:96
	;; [unrolled: 1-line block ×3, first 2 shown]
	s_waitcnt lgkmcnt(0)
	s_barrier
	s_waitcnt lgkmcnt(0)
                                        ; implicit-def: $vgpr50_vgpr51
	s_and_saveexec_b64 s[2:3], s[0:1]
	s_cbranch_execz .LBB0_14
; %bb.13:
	ds_read_b128 v[0:3], v53
	ds_read_b128 v[16:19], v52 offset:192
	ds_read_b128 v[4:7], v52 offset:384
	;; [unrolled: 1-line block ×12, first 2 shown]
.LBB0_14:
	s_or_b64 exec, exec, s[2:3]
	v_cmp_gt_u32_e64 s[2:3], 12, v132
	s_and_b64 s[2:3], vcc, s[2:3]
	s_and_saveexec_b64 s[6:7], s[2:3]
	s_cbranch_execz .LBB0_16
; %bb.15:
	v_add_u32_e32 v52, -12, v132
	v_cndmask_b32_e64 v52, v52, v132, s[0:1]
	v_mul_i32_i24_e32 v52, 12, v52
	v_mov_b32_e32 v53, 0
	v_lshlrev_b64 v[52:53], 4, v[52:53]
	v_mov_b32_e32 v54, s13
	v_add_co_u32_e32 v80, vcc, s12, v52
	v_addc_co_u32_e32 v81, vcc, v54, v53, vcc
	global_load_dwordx4 v[56:59], v[80:81], off offset:224
	global_load_dwordx4 v[52:55], v[80:81], off offset:240
	;; [unrolled: 1-line block ×12, first 2 shown]
	s_mov_b32 s0, 0x93053d00
	s_mov_b32 s1, 0xbfef11f4
	;; [unrolled: 1-line block ×36, first 2 shown]
	s_waitcnt vmcnt(11) lgkmcnt(6)
	v_mul_f64 v[80:81], v[22:23], v[56:57]
	v_mul_f64 v[22:23], v[22:23], v[58:59]
	s_waitcnt vmcnt(9)
	v_mul_f64 v[82:83], v[30:31], v[68:69]
	s_waitcnt vmcnt(8) lgkmcnt(4)
	v_mul_f64 v[104:105], v[34:35], v[60:61]
	v_mul_f64 v[118:119], v[34:35], v[62:63]
	s_waitcnt vmcnt(7)
	v_mul_f64 v[34:35], v[26:27], v[72:73]
	s_waitcnt vmcnt(6) lgkmcnt(3)
	v_mul_f64 v[106:107], v[42:43], v[76:77]
	s_waitcnt vmcnt(4)
	v_mul_f64 v[120:121], v[18:19], v[92:93]
	s_waitcnt vmcnt(3) lgkmcnt(0)
	v_mul_f64 v[126:127], v[50:51], v[96:97]
	v_mul_f64 v[42:43], v[42:43], v[78:79]
	;; [unrolled: 1-line block ×5, first 2 shown]
	s_waitcnt vmcnt(2)
	v_mul_f64 v[130:131], v[6:7], v[100:101]
	s_waitcnt vmcnt(1)
	v_mul_f64 v[133:134], v[46:47], v[110:111]
	v_fma_f64 v[86:87], v[24:25], v[74:75], v[34:35]
	v_fma_f64 v[122:123], v[16:17], v[94:95], v[120:121]
	v_fma_f64 v[34:35], v[48:49], v[98:99], v[126:127]
	v_mul_f64 v[6:7], v[6:7], v[102:103]
	v_mul_f64 v[135:136], v[46:47], v[112:113]
	s_waitcnt vmcnt(0)
	v_mul_f64 v[137:138], v[38:39], v[114:115]
	v_mul_f64 v[139:140], v[38:39], v[116:117]
	v_fma_f64 v[50:51], v[40:41], v[78:79], v[106:107]
	v_fma_f64 v[46:47], v[40:41], v[76:77], -v[42:43]
	v_fma_f64 v[94:95], v[8:9], v[90:91], v[108:109]
	v_fma_f64 v[108:109], v[16:17], v[92:93], -v[18:19]
	v_fma_f64 v[106:107], v[4:5], v[102:103], v[130:131]
	v_fma_f64 v[42:43], v[44:45], v[112:113], v[133:134]
	v_fma_f64 v[38:39], v[48:49], v[96:97], -v[128:129]
	v_add_f64 v[130:131], v[122:123], v[34:35]
	v_mul_f64 v[10:11], v[10:11], v[90:91]
	v_fma_f64 v[100:101], v[4:5], v[100:101], -v[6:7]
	v_fma_f64 v[40:41], v[44:45], v[110:111], -v[135:136]
	v_fma_f64 v[44:45], v[36:37], v[116:117], v[137:138]
	v_fma_f64 v[48:49], v[32:33], v[62:63], v[104:105]
	v_fma_f64 v[32:33], v[32:33], v[60:61], -v[118:119]
	v_add_f64 v[120:121], v[106:107], v[42:43]
	v_add_f64 v[118:119], v[108:109], -v[38:39]
	v_add_f64 v[128:129], v[122:123], -v[34:35]
	v_mul_f64 v[4:5], v[130:131], s[0:1]
	v_mul_f64 v[30:31], v[30:31], v[70:71]
	;; [unrolled: 1-line block ×3, first 2 shown]
	v_fma_f64 v[90:91], v[8:9], v[88:89], -v[10:11]
	v_fma_f64 v[36:37], v[36:37], v[114:115], -v[139:140]
	v_add_f64 v[74:75], v[100:101], -v[40:41]
	v_add_f64 v[116:117], v[108:109], v[38:39]
	v_add_f64 v[98:99], v[106:107], -v[42:43]
	v_add_f64 v[112:113], v[94:95], v[44:45]
	v_mul_f64 v[6:7], v[128:129], s[6:7]
	v_mul_f64 v[8:9], v[120:121], s[14:15]
	v_fma_f64 v[16:17], v[118:119], s[2:3], v[4:5]
	v_fma_f64 v[58:59], v[20:21], v[58:59], v[80:81]
	;; [unrolled: 1-line block ×3, first 2 shown]
	v_fma_f64 v[68:69], v[28:29], v[68:69], -v[30:31]
	v_fma_f64 v[84:85], v[24:25], v[72:73], -v[26:27]
	v_add_f64 v[78:79], v[100:101], v[40:41]
	v_add_f64 v[72:73], v[90:91], -v[36:37]
	v_add_f64 v[96:97], v[94:95], -v[44:45]
	v_add_f64 v[102:103], v[86:87], v[50:51]
	v_mul_f64 v[10:11], v[98:99], s[28:29]
	v_fma_f64 v[18:19], v[116:117], s[0:1], v[6:7]
	v_mul_f64 v[24:25], v[112:113], s[8:9]
	v_fma_f64 v[28:29], v[74:75], s[24:25], v[8:9]
	v_add_f64 v[16:17], v[2:3], v[16:17]
	v_mul_f64 v[124:125], v[14:15], v[52:53]
	v_add_f64 v[76:77], v[90:91], v[36:37]
	v_add_f64 v[60:61], v[84:85], -v[46:47]
	v_add_f64 v[92:93], v[86:87], -v[50:51]
	v_mul_f64 v[26:27], v[96:97], s[12:13]
	v_fma_f64 v[30:31], v[78:79], s[14:15], v[10:11]
	v_add_f64 v[18:19], v[0:1], v[18:19]
	v_add_f64 v[104:105], v[80:81], v[48:49]
	v_mul_f64 v[133:134], v[102:103], s[16:17]
	v_fma_f64 v[110:111], v[72:73], s[22:23], v[24:25]
	v_add_f64 v[16:17], v[28:29], v[16:17]
	v_mul_f64 v[14:15], v[14:15], v[54:55]
	v_add_f64 v[62:63], v[84:85], v[46:47]
	v_add_f64 v[88:89], v[80:81], -v[48:49]
	v_mul_f64 v[135:136], v[92:93], s[26:27]
	v_fma_f64 v[114:115], v[76:77], s[8:9], v[26:27]
	v_add_f64 v[18:19], v[30:31], v[18:19]
	v_add_f64 v[82:83], v[68:69], -v[32:33]
	v_mul_f64 v[28:29], v[104:105], s[30:31]
	v_fma_f64 v[126:127], v[60:61], s[18:19], v[133:134]
	v_add_f64 v[16:17], v[110:111], v[16:17]
	v_fma_f64 v[54:55], v[12:13], v[54:55], v[124:125]
	v_add_f64 v[70:71], v[68:69], v[32:33]
	v_mul_f64 v[30:31], v[88:89], s[34:35]
	v_fma_f64 v[137:138], v[62:63], s[16:17], v[135:136]
	v_add_f64 v[18:19], v[114:115], v[18:19]
	v_fma_f64 v[56:57], v[20:21], v[56:57], -v[22:23]
	v_fma_f64 v[20:21], v[82:83], s[38:39], v[28:29]
	v_fma_f64 v[4:5], v[118:119], s[6:7], v[4:5]
	v_fma_f64 v[6:7], v[116:117], s[0:1], -v[6:7]
	v_add_f64 v[16:17], v[126:127], v[16:17]
	v_fma_f64 v[124:125], v[12:13], v[52:53], -v[14:15]
	v_add_f64 v[114:115], v[58:59], v[54:55]
	v_fma_f64 v[22:23], v[70:71], s[30:31], v[30:31]
	v_add_f64 v[18:19], v[137:138], v[18:19]
	v_fma_f64 v[8:9], v[74:75], s[28:29], v[8:9]
	v_fma_f64 v[10:11], v[78:79], s[14:15], -v[10:11]
	v_add_f64 v[4:5], v[2:3], v[4:5]
	v_add_f64 v[6:7], v[0:1], v[6:7]
	;; [unrolled: 1-line block ×3, first 2 shown]
	v_add_f64 v[52:53], v[56:57], -v[124:125]
	v_mul_f64 v[16:17], v[114:115], s[36:37]
	v_add_f64 v[14:15], v[22:23], v[18:19]
	v_add_f64 v[110:111], v[58:59], -v[54:55]
	v_mul_f64 v[18:19], v[130:131], s[8:9]
	v_add_f64 v[4:5], v[8:9], v[4:5]
	v_fma_f64 v[8:9], v[72:73], s[12:13], v[24:25]
	v_add_f64 v[6:7], v[10:11], v[6:7]
	v_fma_f64 v[10:11], v[76:77], s[8:9], -v[26:27]
	v_fma_f64 v[20:21], v[52:53], s[40:41], v[16:17]
	v_add_f64 v[126:127], v[56:57], v[124:125]
	v_mul_f64 v[22:23], v[110:111], s[42:43]
	v_fma_f64 v[24:25], v[62:63], s[16:17], -v[135:136]
	v_fma_f64 v[26:27], v[118:119], s[22:23], v[18:19]
	v_add_f64 v[4:5], v[8:9], v[4:5]
	v_fma_f64 v[8:9], v[60:61], s[26:27], v[133:134]
	v_add_f64 v[10:11], v[10:11], v[6:7]
	v_mul_f64 v[133:134], v[120:121], s[36:37]
	v_add_f64 v[6:7], v[20:21], v[12:13]
	v_mul_f64 v[12:13], v[128:129], s[12:13]
	v_fma_f64 v[20:21], v[126:127], s[36:37], v[22:23]
	v_fma_f64 v[28:29], v[82:83], s[34:35], v[28:29]
	v_mul_f64 v[135:136], v[112:113], s[16:17]
	v_add_f64 v[8:9], v[8:9], v[4:5]
	v_add_f64 v[10:11], v[24:25], v[10:11]
	;; [unrolled: 1-line block ×3, first 2 shown]
	v_fma_f64 v[26:27], v[74:75], s[40:41], v[133:134]
	v_fma_f64 v[137:138], v[116:117], s[8:9], v[12:13]
	v_mul_f64 v[139:140], v[98:99], s[42:43]
	v_fma_f64 v[30:31], v[70:71], s[30:31], -v[30:31]
	v_add_f64 v[4:5], v[20:21], v[14:15]
	v_add_f64 v[8:9], v[28:29], v[8:9]
	v_fma_f64 v[14:15], v[52:53], s[42:43], v[16:17]
	v_fma_f64 v[20:21], v[72:73], s[26:27], v[135:136]
	v_add_f64 v[16:17], v[26:27], v[24:25]
	v_add_f64 v[24:25], v[0:1], v[137:138]
	v_fma_f64 v[26:27], v[78:79], s[36:37], v[139:140]
	v_add_f64 v[28:29], v[30:31], v[10:11]
	v_mul_f64 v[30:31], v[96:97], s[18:19]
	v_mul_f64 v[137:138], v[102:103], s[0:1]
	v_add_f64 v[10:11], v[14:15], v[8:9]
	v_fma_f64 v[14:15], v[118:119], s[12:13], v[18:19]
	v_add_f64 v[8:9], v[20:21], v[16:17]
	v_fma_f64 v[12:13], v[116:117], s[8:9], -v[12:13]
	v_add_f64 v[16:17], v[26:27], v[24:25]
	v_mul_f64 v[20:21], v[92:93], s[2:3]
	v_fma_f64 v[18:19], v[76:77], s[16:17], v[30:31]
	v_fma_f64 v[22:23], v[126:127], s[36:37], -v[22:23]
	v_fma_f64 v[24:25], v[60:61], s[6:7], v[137:138]
	v_fma_f64 v[133:134], v[74:75], s[42:43], v[133:134]
	v_add_f64 v[14:15], v[2:3], v[14:15]
	v_fma_f64 v[139:140], v[78:79], s[36:37], -v[139:140]
	v_add_f64 v[12:13], v[0:1], v[12:13]
	v_mul_f64 v[141:142], v[88:89], s[28:29]
	v_add_f64 v[16:17], v[18:19], v[16:17]
	v_fma_f64 v[18:19], v[62:63], s[0:1], v[20:21]
	v_mul_f64 v[26:27], v[104:105], s[14:15]
	v_add_f64 v[24:25], v[24:25], v[8:9]
	v_add_f64 v[14:15], v[133:134], v[14:15]
	v_fma_f64 v[133:134], v[72:73], s[18:19], v[135:136]
	v_add_f64 v[12:13], v[139:140], v[12:13]
	v_fma_f64 v[30:31], v[76:77], s[16:17], -v[30:31]
	v_add_f64 v[8:9], v[22:23], v[28:29]
	v_add_f64 v[16:17], v[18:19], v[16:17]
	v_fma_f64 v[18:19], v[70:71], s[14:15], v[141:142]
	v_mul_f64 v[22:23], v[130:131], s[30:31]
	v_fma_f64 v[143:144], v[82:83], s[24:25], v[26:27]
	v_add_f64 v[14:15], v[133:134], v[14:15]
	v_fma_f64 v[28:29], v[60:61], s[2:3], v[137:138]
	v_add_f64 v[12:13], v[30:31], v[12:13]
	v_fma_f64 v[20:21], v[62:63], s[0:1], -v[20:21]
	v_mul_f64 v[133:134], v[120:121], s[8:9]
	v_add_f64 v[16:17], v[18:19], v[16:17]
	v_mul_f64 v[18:19], v[114:115], s[30:31]
	v_fma_f64 v[30:31], v[118:119], s[38:39], v[22:23]
	v_add_f64 v[24:25], v[143:144], v[24:25]
	v_mul_f64 v[135:136], v[110:111], s[34:35]
	v_add_f64 v[14:15], v[28:29], v[14:15]
	v_fma_f64 v[26:27], v[82:83], s[28:29], v[26:27]
	v_add_f64 v[12:13], v[20:21], v[12:13]
	v_fma_f64 v[20:21], v[70:71], s[14:15], -v[141:142]
	v_fma_f64 v[28:29], v[52:53], s[38:39], v[18:19]
	v_add_f64 v[30:31], v[2:3], v[30:31]
	v_fma_f64 v[137:138], v[74:75], s[12:13], v[133:134]
	v_mul_f64 v[139:140], v[112:113], s[14:15]
	v_mul_f64 v[143:144], v[128:129], s[34:35]
	v_fma_f64 v[141:142], v[126:127], s[30:31], v[135:136]
	v_add_f64 v[26:27], v[26:27], v[14:15]
	v_add_f64 v[20:21], v[20:21], v[12:13]
	v_fma_f64 v[18:19], v[52:53], s[34:35], v[18:19]
	v_fma_f64 v[135:136], v[126:127], s[30:31], -v[135:136]
	v_add_f64 v[30:31], v[137:138], v[30:31]
	v_fma_f64 v[137:138], v[72:73], s[24:25], v[139:140]
	v_add_f64 v[14:15], v[28:29], v[24:25]
	v_fma_f64 v[24:25], v[116:117], s[30:31], v[143:144]
	v_mul_f64 v[28:29], v[98:99], s[22:23]
	v_add_f64 v[12:13], v[141:142], v[16:17]
	v_add_f64 v[18:19], v[18:19], v[26:27]
	v_mul_f64 v[26:27], v[102:103], s[36:37]
	v_add_f64 v[16:17], v[135:136], v[20:21]
	v_add_f64 v[20:21], v[137:138], v[30:31]
	v_fma_f64 v[22:23], v[118:119], s[34:35], v[22:23]
	v_add_f64 v[24:25], v[0:1], v[24:25]
	v_fma_f64 v[30:31], v[116:117], s[30:31], -v[143:144]
	v_fma_f64 v[135:136], v[78:79], s[8:9], v[28:29]
	v_mul_f64 v[137:138], v[96:97], s[28:29]
	v_fma_f64 v[141:142], v[60:61], s[42:43], v[26:27]
	v_mul_f64 v[143:144], v[104:105], s[0:1]
	v_fma_f64 v[133:134], v[74:75], s[22:23], v[133:134]
	v_add_f64 v[22:23], v[2:3], v[22:23]
	v_fma_f64 v[28:29], v[78:79], s[8:9], -v[28:29]
	v_add_f64 v[30:31], v[0:1], v[30:31]
	v_add_f64 v[24:25], v[135:136], v[24:25]
	v_fma_f64 v[135:136], v[76:77], s[14:15], v[137:138]
	v_mul_f64 v[145:146], v[92:93], s[40:41]
	v_add_f64 v[20:21], v[141:142], v[20:21]
	v_fma_f64 v[141:142], v[82:83], s[6:7], v[143:144]
	v_add_f64 v[22:23], v[133:134], v[22:23]
	v_fma_f64 v[133:134], v[72:73], s[28:29], v[139:140]
	v_add_f64 v[28:29], v[28:29], v[30:31]
	v_fma_f64 v[30:31], v[76:77], s[14:15], -v[137:138]
	v_add_f64 v[24:25], v[135:136], v[24:25]
	v_fma_f64 v[135:136], v[62:63], s[36:37], v[145:146]
	v_mul_f64 v[137:138], v[88:89], s[2:3]
	v_mul_f64 v[139:140], v[114:115], s[16:17]
	v_add_f64 v[20:21], v[141:142], v[20:21]
	v_add_f64 v[22:23], v[133:134], v[22:23]
	v_fma_f64 v[26:27], v[60:61], s[40:41], v[26:27]
	v_add_f64 v[28:29], v[30:31], v[28:29]
	v_fma_f64 v[30:31], v[62:63], s[36:37], -v[145:146]
	v_add_f64 v[24:25], v[135:136], v[24:25]
	v_fma_f64 v[133:134], v[70:71], s[0:1], v[137:138]
	v_mul_f64 v[141:142], v[130:131], s[36:37]
	v_fma_f64 v[135:136], v[52:53], s[18:19], v[139:140]
	v_mul_f64 v[145:146], v[110:111], s[26:27]
	v_add_f64 v[26:27], v[26:27], v[22:23]
	v_fma_f64 v[143:144], v[82:83], s[2:3], v[143:144]
	v_add_f64 v[28:29], v[30:31], v[28:29]
	v_fma_f64 v[30:31], v[70:71], s[0:1], -v[137:138]
	v_mul_f64 v[137:138], v[128:129], s[40:41]
	v_add_f64 v[24:25], v[133:134], v[24:25]
	v_fma_f64 v[133:134], v[118:119], s[42:43], v[141:142]
	v_mul_f64 v[147:148], v[120:121], s[0:1]
	v_add_f64 v[22:23], v[135:136], v[20:21]
	v_fma_f64 v[20:21], v[126:127], s[16:17], v[145:146]
	v_add_f64 v[26:27], v[143:144], v[26:27]
	v_add_f64 v[28:29], v[30:31], v[28:29]
	v_fma_f64 v[30:31], v[116:117], s[36:37], v[137:138]
	v_mul_f64 v[135:136], v[98:99], s[6:7]
	v_add_f64 v[133:134], v[2:3], v[133:134]
	v_fma_f64 v[143:144], v[74:75], s[2:3], v[147:148]
	v_mul_f64 v[149:150], v[112:113], s[30:31]
	v_fma_f64 v[139:140], v[52:53], s[26:27], v[139:140]
	v_fma_f64 v[145:146], v[126:127], s[16:17], -v[145:146]
	v_add_f64 v[20:21], v[20:21], v[24:25]
	v_add_f64 v[24:25], v[0:1], v[30:31]
	v_fma_f64 v[151:152], v[78:79], s[0:1], v[135:136]
	v_mul_f64 v[153:154], v[96:97], s[38:39]
	v_add_f64 v[133:134], v[143:144], v[133:134]
	v_fma_f64 v[143:144], v[72:73], s[34:35], v[149:150]
	v_add_f64 v[30:31], v[139:140], v[26:27]
	v_fma_f64 v[26:27], v[118:119], s[40:41], v[141:142]
	v_mul_f64 v[139:140], v[102:103], s[14:15]
	v_add_f64 v[28:29], v[145:146], v[28:29]
	v_add_f64 v[24:25], v[151:152], v[24:25]
	v_fma_f64 v[141:142], v[76:77], s[30:31], v[153:154]
	v_mul_f64 v[145:146], v[92:93], s[28:29]
	v_add_f64 v[133:134], v[143:144], v[133:134]
	v_fma_f64 v[137:138], v[116:117], s[36:37], -v[137:138]
	v_fma_f64 v[143:144], v[74:75], s[6:7], v[147:148]
	v_add_f64 v[26:27], v[2:3], v[26:27]
	v_fma_f64 v[147:148], v[60:61], s[24:25], v[139:140]
	v_mul_f64 v[151:152], v[104:105], s[16:17]
	v_add_f64 v[24:25], v[141:142], v[24:25]
	v_fma_f64 v[141:142], v[62:63], s[14:15], v[145:146]
	v_fma_f64 v[135:136], v[78:79], s[0:1], -v[135:136]
	v_add_f64 v[137:138], v[0:1], v[137:138]
	v_mul_f64 v[155:156], v[88:89], s[18:19]
	v_add_f64 v[26:27], v[143:144], v[26:27]
	v_fma_f64 v[143:144], v[72:73], s[38:39], v[149:150]
	v_add_f64 v[133:134], v[147:148], v[133:134]
	v_fma_f64 v[147:148], v[82:83], s[26:27], v[151:152]
	v_mul_f64 v[149:150], v[114:115], s[8:9]
	v_add_f64 v[24:25], v[141:142], v[24:25]
	v_add_f64 v[135:136], v[135:136], v[137:138]
	v_fma_f64 v[137:138], v[76:77], s[30:31], -v[153:154]
	v_fma_f64 v[141:142], v[70:71], s[16:17], v[155:156]
	v_add_f64 v[26:27], v[143:144], v[26:27]
	v_fma_f64 v[139:140], v[60:61], s[28:29], v[139:140]
	v_add_f64 v[133:134], v[147:148], v[133:134]
	v_fma_f64 v[143:144], v[52:53], s[22:23], v[149:150]
	v_mul_f64 v[147:148], v[130:131], s[16:17]
	v_mul_f64 v[153:154], v[110:111], s[12:13]
	v_add_f64 v[135:136], v[137:138], v[135:136]
	v_fma_f64 v[137:138], v[62:63], s[14:15], -v[145:146]
	v_add_f64 v[24:25], v[141:142], v[24:25]
	v_add_f64 v[139:140], v[139:140], v[26:27]
	v_fma_f64 v[141:142], v[82:83], s[18:19], v[151:152]
	v_add_f64 v[26:27], v[143:144], v[133:134]
	v_fma_f64 v[133:134], v[118:119], s[26:27], v[147:148]
	v_mul_f64 v[143:144], v[120:121], s[30:31]
	v_fma_f64 v[145:146], v[126:127], s[8:9], v[153:154]
	v_mul_f64 v[151:152], v[128:129], s[18:19]
	v_add_f64 v[135:136], v[137:138], v[135:136]
	v_fma_f64 v[137:138], v[70:71], s[16:17], -v[155:156]
	v_add_f64 v[139:140], v[141:142], v[139:140]
	v_fma_f64 v[141:142], v[52:53], s[12:13], v[149:150]
	v_add_f64 v[133:134], v[2:3], v[133:134]
	v_fma_f64 v[149:150], v[74:75], s[38:39], v[143:144]
	v_add_f64 v[24:25], v[145:146], v[24:25]
	v_mul_f64 v[145:146], v[112:113], s[0:1]
	v_fma_f64 v[155:156], v[116:117], s[16:17], v[151:152]
	v_mul_f64 v[157:158], v[98:99], s[34:35]
	v_add_f64 v[137:138], v[137:138], v[135:136]
	v_add_f64 v[135:136], v[141:142], v[139:140]
	v_fma_f64 v[139:140], v[118:119], s[18:19], v[147:148]
	v_add_f64 v[133:134], v[149:150], v[133:134]
	v_mul_f64 v[147:148], v[102:103], s[8:9]
	v_fma_f64 v[141:142], v[72:73], s[2:3], v[145:146]
	v_add_f64 v[149:150], v[0:1], v[155:156]
	v_fma_f64 v[151:152], v[116:117], s[16:17], -v[151:152]
	v_fma_f64 v[155:156], v[78:79], s[30:31], v[157:158]
	v_mul_f64 v[159:160], v[96:97], s[6:7]
	v_fma_f64 v[143:144], v[74:75], s[34:35], v[143:144]
	v_add_f64 v[139:140], v[2:3], v[139:140]
	v_fma_f64 v[157:158], v[78:79], s[30:31], -v[157:158]
	v_add_f64 v[133:134], v[141:142], v[133:134]
	v_fma_f64 v[141:142], v[60:61], s[12:13], v[147:148]
	v_add_f64 v[151:152], v[0:1], v[151:152]
	v_add_f64 v[149:150], v[155:156], v[149:150]
	v_fma_f64 v[155:156], v[76:77], s[0:1], v[159:160]
	v_mul_f64 v[161:162], v[92:93], s[22:23]
	v_add_f64 v[139:140], v[143:144], v[139:140]
	v_fma_f64 v[143:144], v[72:73], s[6:7], v[145:146]
	v_fma_f64 v[153:154], v[126:127], s[8:9], -v[153:154]
	v_add_f64 v[133:134], v[141:142], v[133:134]
	v_mul_f64 v[141:142], v[104:105], s[36:37]
	v_add_f64 v[145:146], v[157:158], v[151:152]
	v_fma_f64 v[151:152], v[76:77], s[0:1], -v[159:160]
	v_add_f64 v[149:150], v[155:156], v[149:150]
	v_fma_f64 v[155:156], v[62:63], s[8:9], v[161:162]
	v_mul_f64 v[157:158], v[88:89], s[42:43]
	v_add_f64 v[139:140], v[143:144], v[139:140]
	v_fma_f64 v[143:144], v[60:61], s[22:23], v[147:148]
	v_fma_f64 v[147:148], v[82:83], s[40:41], v[141:142]
	v_mul_f64 v[159:160], v[114:115], s[14:15]
	v_add_f64 v[145:146], v[151:152], v[145:146]
	v_fma_f64 v[151:152], v[62:63], s[8:9], -v[161:162]
	v_add_f64 v[149:150], v[155:156], v[149:150]
	v_fma_f64 v[155:156], v[70:71], s[36:37], v[157:158]
	v_mul_f64 v[161:162], v[110:111], s[28:29]
	v_add_f64 v[139:140], v[143:144], v[139:140]
	v_add_f64 v[143:144], v[147:148], v[133:134]
	v_fma_f64 v[147:148], v[52:53], s[24:25], v[159:160]
	v_add_f64 v[133:134], v[153:154], v[137:138]
	v_add_f64 v[108:109], v[0:1], v[108:109]
	v_mul_f64 v[153:154], v[130:131], s[14:15]
	v_add_f64 v[137:138], v[155:156], v[149:150]
	v_fma_f64 v[149:150], v[126:127], s[14:15], v[161:162]
	v_fma_f64 v[141:142], v[82:83], s[42:43], v[141:142]
	v_add_f64 v[145:146], v[151:152], v[145:146]
	v_add_f64 v[130:131], v[147:148], v[143:144]
	v_mul_f64 v[147:148], v[128:129], s[24:25]
	v_fma_f64 v[151:152], v[70:71], s[36:37], -v[157:158]
	v_add_f64 v[100:101], v[100:101], v[108:109]
	v_mul_f64 v[108:109], v[112:113], s[36:37]
	v_add_f64 v[128:129], v[149:150], v[137:138]
	v_add_f64 v[137:138], v[2:3], v[122:123]
	v_add_f64 v[139:140], v[141:142], v[139:140]
	v_fma_f64 v[141:142], v[52:53], s[28:29], v[159:160]
	v_mul_f64 v[98:99], v[98:99], s[18:19]
	v_add_f64 v[143:144], v[151:152], v[145:146]
	v_fma_f64 v[145:146], v[126:127], s[14:15], -v[161:162]
	v_add_f64 v[90:91], v[90:91], v[100:101]
	v_mul_f64 v[96:97], v[96:97], s[40:41]
	v_add_f64 v[106:107], v[106:107], v[137:138]
	v_mul_f64 v[92:93], v[92:93], s[34:35]
	;; [unrolled: 2-line block ×3, first 2 shown]
	v_fma_f64 v[139:140], v[118:119], s[28:29], v[153:154]
	v_add_f64 v[120:121], v[145:146], v[143:144]
	v_fma_f64 v[143:144], v[116:117], s[14:15], v[147:148]
	v_fma_f64 v[116:117], v[116:117], s[14:15], -v[147:148]
	v_add_f64 v[94:95], v[94:95], v[106:107]
	v_add_f64 v[84:85], v[84:85], v[90:91]
	v_fma_f64 v[118:119], v[118:119], s[24:25], v[153:154]
	v_fma_f64 v[100:101], v[72:73], s[42:43], v[108:109]
	v_add_f64 v[137:138], v[2:3], v[139:140]
	v_fma_f64 v[139:140], v[74:75], s[26:27], v[141:142]
	v_add_f64 v[112:113], v[0:1], v[143:144]
	v_add_f64 v[0:1], v[0:1], v[116:117]
	;; [unrolled: 1-line block ×3, first 2 shown]
	v_mul_lo_u32 v117, s4, v67
	v_add_f64 v[67:68], v[68:69], v[84:85]
	v_fma_f64 v[94:95], v[78:79], s[16:17], v[98:99]
	v_add_f64 v[2:3], v[2:3], v[118:119]
	v_mul_lo_u32 v116, s5, v66
	v_mad_u64_u32 v[84:85], s[4:5], s4, v66, 0
	v_add_f64 v[80:81], v[80:81], v[86:87]
	v_add_f64 v[106:107], v[139:140], v[137:138]
	;; [unrolled: 1-line block ×3, first 2 shown]
	v_fma_f64 v[66:67], v[74:75], s[18:19], v[141:142]
	v_fma_f64 v[74:75], v[78:79], s[16:17], -v[98:99]
	v_add_f64 v[86:87], v[94:95], v[112:113]
	v_fma_f64 v[94:95], v[76:77], s[36:37], v[96:97]
	v_mul_f64 v[102:103], v[102:103], s[30:31]
	v_add_f64 v[58:59], v[58:59], v[80:81]
	v_mul_f64 v[88:89], v[88:89], s[12:13]
	v_add_f64 v[56:57], v[124:125], v[56:57]
	v_add_f64 v[2:3], v[66:67], v[2:3]
	v_fma_f64 v[66:67], v[76:77], s[36:37], -v[96:97]
	v_add_f64 v[0:1], v[74:75], v[0:1]
	v_add_f64 v[80:81], v[94:95], v[86:87]
	v_fma_f64 v[86:87], v[62:63], s[30:31], v[92:93]
	v_add_f64 v[54:55], v[54:55], v[58:59]
	v_add_f64 v[90:91], v[100:101], v[106:107]
	;; [unrolled: 1-line block ×3, first 2 shown]
	v_fma_f64 v[100:101], v[60:61], s[38:39], v[102:103]
	v_mul_f64 v[104:105], v[104:105], s[8:9]
	v_fma_f64 v[72:73], v[72:73], s[40:41], v[108:109]
	v_fma_f64 v[56:57], v[60:61], s[34:35], v[102:103]
	v_fma_f64 v[60:61], v[62:63], s[30:31], -v[92:93]
	v_add_f64 v[48:49], v[48:49], v[54:55]
	v_add_f64 v[0:1], v[66:67], v[0:1]
	;; [unrolled: 1-line block ×4, first 2 shown]
	v_fma_f64 v[78:79], v[70:71], s[8:9], v[88:89]
	v_mul_f64 v[46:47], v[110:111], s[6:7]
	v_add_f64 v[90:91], v[100:101], v[90:91]
	v_fma_f64 v[100:101], v[82:83], s[22:23], v[104:105]
	v_add_f64 v[48:49], v[50:51], v[48:49]
	v_mul_f64 v[54:55], v[114:115], s[0:1]
	v_add_f64 v[2:3], v[72:73], v[2:3]
	v_fma_f64 v[66:67], v[70:71], s[8:9], -v[88:89]
	v_add_f64 v[0:1], v[60:61], v[0:1]
	v_add_f64 v[32:33], v[36:37], v[32:33]
	v_add_f64 v[58:59], v[78:79], v[58:59]
	v_fma_f64 v[36:37], v[126:127], s[0:1], v[46:47]
	v_add_f64 v[44:45], v[44:45], v[48:49]
	v_add_f64 v[68:69], v[100:101], v[90:91]
	v_fma_f64 v[50:51], v[52:53], s[2:3], v[54:55]
	v_fma_f64 v[62:63], v[82:83], s[12:13], v[104:105]
	v_add_f64 v[56:57], v[56:57], v[2:3]
	v_fma_f64 v[48:49], v[52:53], s[6:7], v[54:55]
	v_fma_f64 v[46:47], v[126:127], s[0:1], -v[46:47]
	v_mad_u64_u32 v[54:55], s[0:1], s20, v132, 0
	v_add_f64 v[52:53], v[66:67], v[0:1]
	v_add_f64 v[32:33], v[40:41], v[32:33]
	;; [unrolled: 1-line block ×3, first 2 shown]
	v_mov_b32_e32 v36, v55
	v_mad_u64_u32 v[36:37], s[0:1], s21, v132, v[36:37]
	v_add_f64 v[44:45], v[42:43], v[44:45]
	v_add_f64 v[2:3], v[50:51], v[68:69]
	;; [unrolled: 1-line block ×3, first 2 shown]
	v_add3_u32 v85, v85, v117, v116
	v_mov_b32_e32 v55, v36
	v_lshlrev_b64 v[36:37], 4, v[84:85]
	v_add_f64 v[40:41], v[46:47], v[52:53]
	v_add_f64 v[32:33], v[38:39], v[32:33]
	v_mov_b32_e32 v38, s11
	v_add_co_u32_e32 v39, vcc, s10, v36
	v_addc_co_u32_e32 v38, vcc, v38, v37, vcc
	v_lshlrev_b64 v[36:37], 4, v[64:65]
	v_add_f64 v[34:35], v[34:35], v[44:45]
	v_add_co_u32_e32 v47, vcc, v39, v36
	v_add_u32_e32 v44, 12, v132
	v_add_f64 v[42:43], v[48:49], v[50:51]
	v_addc_co_u32_e32 v48, vcc, v38, v37, vcc
	v_mad_u64_u32 v[38:39], s[0:1], s20, v44, 0
	v_add_u32_e32 v49, 24, v132
	v_lshlrev_b64 v[36:37], 4, v[54:55]
	v_mad_u64_u32 v[44:45], s[0:1], s21, v44, v[39:40]
	v_mad_u64_u32 v[45:46], s[0:1], s20, v49, 0
	v_add_co_u32_e32 v36, vcc, v47, v36
	v_addc_co_u32_e32 v37, vcc, v48, v37, vcc
	global_store_dwordx4 v[36:37], v[32:35], off
	v_add_u32_e32 v36, 36, v132
	v_mov_b32_e32 v34, v46
	v_mad_u64_u32 v[34:35], s[0:1], s21, v49, v[34:35]
	v_mov_b32_e32 v39, v44
	v_lshlrev_b64 v[32:33], 4, v[38:39]
	v_mov_b32_e32 v46, v34
	v_mad_u64_u32 v[34:35], s[0:1], s20, v36, 0
	v_add_co_u32_e32 v32, vcc, v47, v32
	v_addc_co_u32_e32 v33, vcc, v48, v33, vcc
	v_mad_u64_u32 v[35:36], s[0:1], s21, v36, v[35:36]
	v_or_b32_e32 v38, 48, v132
	global_store_dwordx4 v[32:33], v[40:43], off
	v_lshlrev_b64 v[32:33], 4, v[45:46]
	v_mad_u64_u32 v[36:37], s[0:1], s20, v38, 0
	v_add_co_u32_e32 v32, vcc, v47, v32
	v_addc_co_u32_e32 v33, vcc, v48, v33, vcc
	global_store_dwordx4 v[32:33], v[120:123], off
	v_lshlrev_b64 v[32:33], 4, v[34:35]
	v_mov_b32_e32 v34, v37
	v_mad_u64_u32 v[34:35], s[0:1], s21, v38, v[34:35]
	v_add_co_u32_e32 v32, vcc, v47, v32
	v_addc_co_u32_e32 v33, vcc, v48, v33, vcc
	v_mov_b32_e32 v37, v34
	global_store_dwordx4 v[32:33], v[133:136], off
	v_lshlrev_b64 v[32:33], 4, v[36:37]
	v_add_u32_e32 v36, 60, v132
	v_mad_u64_u32 v[34:35], s[0:1], s20, v36, 0
	v_add_co_u32_e32 v32, vcc, v47, v32
	v_mad_u64_u32 v[35:36], s[0:1], s21, v36, v[35:36]
	v_addc_co_u32_e32 v33, vcc, v48, v33, vcc
	v_add_u32_e32 v38, 0x48, v132
	v_mad_u64_u32 v[36:37], s[0:1], s20, v38, 0
	global_store_dwordx4 v[32:33], v[28:31], off
	s_nop 0
	v_lshlrev_b64 v[28:29], 4, v[34:35]
	v_mov_b32_e32 v30, v37
	v_add_co_u32_e32 v28, vcc, v47, v28
	v_addc_co_u32_e32 v29, vcc, v48, v29, vcc
	global_store_dwordx4 v[28:29], v[16:19], off
	v_add_u32_e32 v28, 0x54, v132
	v_mad_u64_u32 v[30:31], s[0:1], s21, v38, v[30:31]
	v_mad_u64_u32 v[18:19], s[0:1], s20, v28, 0
	v_mov_b32_e32 v37, v30
	v_lshlrev_b64 v[16:17], 4, v[36:37]
	v_mad_u64_u32 v[28:29], s[0:1], s21, v28, v[19:20]
	v_add_co_u32_e32 v16, vcc, v47, v16
	v_addc_co_u32_e32 v17, vcc, v48, v17, vcc
	v_or_b32_e32 v31, 0x60, v132
	v_mov_b32_e32 v19, v28
	v_mad_u64_u32 v[29:30], s[0:1], s20, v31, 0
	global_store_dwordx4 v[16:17], v[8:11], off
	s_nop 0
	v_lshlrev_b64 v[8:9], 4, v[18:19]
	v_mov_b32_e32 v10, v30
	v_add_co_u32_e32 v8, vcc, v47, v8
	v_addc_co_u32_e32 v9, vcc, v48, v9, vcc
	global_store_dwordx4 v[8:9], v[4:7], off
	v_add_u32_e32 v8, 0x6c, v132
	v_mad_u64_u32 v[10:11], s[0:1], s21, v31, v[10:11]
	v_mad_u64_u32 v[6:7], s[0:1], s20, v8, 0
	v_mov_b32_e32 v30, v10
	v_add_u32_e32 v10, 0x78, v132
	v_mad_u64_u32 v[7:8], s[0:1], s21, v8, v[7:8]
	v_lshlrev_b64 v[4:5], 4, v[29:30]
	v_mad_u64_u32 v[8:9], s[0:1], s20, v10, 0
	v_add_co_u32_e32 v4, vcc, v47, v4
	v_addc_co_u32_e32 v5, vcc, v48, v5, vcc
	global_store_dwordx4 v[4:5], v[12:15], off
	v_lshlrev_b64 v[4:5], 4, v[6:7]
	v_mov_b32_e32 v6, v9
	v_mad_u64_u32 v[6:7], s[0:1], s21, v10, v[6:7]
	v_add_co_u32_e32 v4, vcc, v47, v4
	v_addc_co_u32_e32 v5, vcc, v48, v5, vcc
	v_mov_b32_e32 v9, v6
	global_store_dwordx4 v[4:5], v[20:23], off
	v_lshlrev_b64 v[4:5], 4, v[8:9]
	v_add_u32_e32 v8, 0x84, v132
	v_mad_u64_u32 v[6:7], s[0:1], s20, v8, 0
	v_or_b32_e32 v10, 0x90, v132
	v_add_co_u32_e32 v4, vcc, v47, v4
	v_mad_u64_u32 v[7:8], s[0:1], s21, v8, v[7:8]
	v_mad_u64_u32 v[8:9], s[0:1], s20, v10, 0
	v_addc_co_u32_e32 v5, vcc, v48, v5, vcc
	global_store_dwordx4 v[4:5], v[24:27], off
	v_lshlrev_b64 v[4:5], 4, v[6:7]
	v_mov_b32_e32 v6, v9
	v_mad_u64_u32 v[6:7], s[0:1], s21, v10, v[6:7]
	v_add_co_u32_e32 v4, vcc, v47, v4
	v_addc_co_u32_e32 v5, vcc, v48, v5, vcc
	v_mov_b32_e32 v9, v6
	global_store_dwordx4 v[4:5], v[128:131], off
	v_lshlrev_b64 v[4:5], 4, v[8:9]
	v_add_co_u32_e32 v4, vcc, v47, v4
	v_addc_co_u32_e32 v5, vcc, v48, v5, vcc
	global_store_dwordx4 v[4:5], v[0:3], off
.LBB0_16:
	s_endpgm
	.section	.rodata,"a",@progbits
	.p2align	6, 0x0
	.amdhsa_kernel fft_rtc_fwd_len156_factors_3_4_13_wgs_117_tpt_13_dp_op_CI_CI_sbrr_dirReg
		.amdhsa_group_segment_fixed_size 0
		.amdhsa_private_segment_fixed_size 0
		.amdhsa_kernarg_size 104
		.amdhsa_user_sgpr_count 6
		.amdhsa_user_sgpr_private_segment_buffer 1
		.amdhsa_user_sgpr_dispatch_ptr 0
		.amdhsa_user_sgpr_queue_ptr 0
		.amdhsa_user_sgpr_kernarg_segment_ptr 1
		.amdhsa_user_sgpr_dispatch_id 0
		.amdhsa_user_sgpr_flat_scratch_init 0
		.amdhsa_user_sgpr_private_segment_size 0
		.amdhsa_uses_dynamic_stack 0
		.amdhsa_system_sgpr_private_segment_wavefront_offset 0
		.amdhsa_system_sgpr_workgroup_id_x 1
		.amdhsa_system_sgpr_workgroup_id_y 0
		.amdhsa_system_sgpr_workgroup_id_z 0
		.amdhsa_system_sgpr_workgroup_info 0
		.amdhsa_system_vgpr_workitem_id 0
		.amdhsa_next_free_vgpr 163
		.amdhsa_next_free_sgpr 44
		.amdhsa_reserve_vcc 1
		.amdhsa_reserve_flat_scratch 0
		.amdhsa_float_round_mode_32 0
		.amdhsa_float_round_mode_16_64 0
		.amdhsa_float_denorm_mode_32 3
		.amdhsa_float_denorm_mode_16_64 3
		.amdhsa_dx10_clamp 1
		.amdhsa_ieee_mode 1
		.amdhsa_fp16_overflow 0
		.amdhsa_exception_fp_ieee_invalid_op 0
		.amdhsa_exception_fp_denorm_src 0
		.amdhsa_exception_fp_ieee_div_zero 0
		.amdhsa_exception_fp_ieee_overflow 0
		.amdhsa_exception_fp_ieee_underflow 0
		.amdhsa_exception_fp_ieee_inexact 0
		.amdhsa_exception_int_div_zero 0
	.end_amdhsa_kernel
	.text
.Lfunc_end0:
	.size	fft_rtc_fwd_len156_factors_3_4_13_wgs_117_tpt_13_dp_op_CI_CI_sbrr_dirReg, .Lfunc_end0-fft_rtc_fwd_len156_factors_3_4_13_wgs_117_tpt_13_dp_op_CI_CI_sbrr_dirReg
                                        ; -- End function
	.section	.AMDGPU.csdata,"",@progbits
; Kernel info:
; codeLenInByte = 8924
; NumSgprs: 48
; NumVgprs: 163
; ScratchSize: 0
; MemoryBound: 1
; FloatMode: 240
; IeeeMode: 1
; LDSByteSize: 0 bytes/workgroup (compile time only)
; SGPRBlocks: 5
; VGPRBlocks: 40
; NumSGPRsForWavesPerEU: 48
; NumVGPRsForWavesPerEU: 163
; Occupancy: 1
; WaveLimiterHint : 1
; COMPUTE_PGM_RSRC2:SCRATCH_EN: 0
; COMPUTE_PGM_RSRC2:USER_SGPR: 6
; COMPUTE_PGM_RSRC2:TRAP_HANDLER: 0
; COMPUTE_PGM_RSRC2:TGID_X_EN: 1
; COMPUTE_PGM_RSRC2:TGID_Y_EN: 0
; COMPUTE_PGM_RSRC2:TGID_Z_EN: 0
; COMPUTE_PGM_RSRC2:TIDIG_COMP_CNT: 0
	.type	__hip_cuid_2e14f20e082c806,@object ; @__hip_cuid_2e14f20e082c806
	.section	.bss,"aw",@nobits
	.globl	__hip_cuid_2e14f20e082c806
__hip_cuid_2e14f20e082c806:
	.byte	0                               ; 0x0
	.size	__hip_cuid_2e14f20e082c806, 1

	.ident	"AMD clang version 19.0.0git (https://github.com/RadeonOpenCompute/llvm-project roc-6.4.0 25133 c7fe45cf4b819c5991fe208aaa96edf142730f1d)"
	.section	".note.GNU-stack","",@progbits
	.addrsig
	.addrsig_sym __hip_cuid_2e14f20e082c806
	.amdgpu_metadata
---
amdhsa.kernels:
  - .args:
      - .actual_access:  read_only
        .address_space:  global
        .offset:         0
        .size:           8
        .value_kind:     global_buffer
      - .offset:         8
        .size:           8
        .value_kind:     by_value
      - .actual_access:  read_only
        .address_space:  global
        .offset:         16
        .size:           8
        .value_kind:     global_buffer
      - .actual_access:  read_only
        .address_space:  global
        .offset:         24
        .size:           8
        .value_kind:     global_buffer
      - .actual_access:  read_only
        .address_space:  global
        .offset:         32
        .size:           8
        .value_kind:     global_buffer
      - .offset:         40
        .size:           8
        .value_kind:     by_value
      - .actual_access:  read_only
        .address_space:  global
        .offset:         48
        .size:           8
        .value_kind:     global_buffer
      - .actual_access:  read_only
        .address_space:  global
        .offset:         56
        .size:           8
        .value_kind:     global_buffer
      - .offset:         64
        .size:           4
        .value_kind:     by_value
      - .actual_access:  read_only
        .address_space:  global
        .offset:         72
        .size:           8
        .value_kind:     global_buffer
      - .actual_access:  read_only
        .address_space:  global
        .offset:         80
        .size:           8
        .value_kind:     global_buffer
      - .actual_access:  read_only
        .address_space:  global
        .offset:         88
        .size:           8
        .value_kind:     global_buffer
      - .actual_access:  write_only
        .address_space:  global
        .offset:         96
        .size:           8
        .value_kind:     global_buffer
    .group_segment_fixed_size: 0
    .kernarg_segment_align: 8
    .kernarg_segment_size: 104
    .language:       OpenCL C
    .language_version:
      - 2
      - 0
    .max_flat_workgroup_size: 117
    .name:           fft_rtc_fwd_len156_factors_3_4_13_wgs_117_tpt_13_dp_op_CI_CI_sbrr_dirReg
    .private_segment_fixed_size: 0
    .sgpr_count:     48
    .sgpr_spill_count: 0
    .symbol:         fft_rtc_fwd_len156_factors_3_4_13_wgs_117_tpt_13_dp_op_CI_CI_sbrr_dirReg.kd
    .uniform_work_group_size: 1
    .uses_dynamic_stack: false
    .vgpr_count:     163
    .vgpr_spill_count: 0
    .wavefront_size: 64
amdhsa.target:   amdgcn-amd-amdhsa--gfx906
amdhsa.version:
  - 1
  - 2
...

	.end_amdgpu_metadata
